;; amdgpu-corpus repo=ROCm/rocFFT kind=compiled arch=gfx950 opt=O3
	.text
	.amdgcn_target "amdgcn-amd-amdhsa--gfx950"
	.amdhsa_code_object_version 6
	.protected	fft_rtc_back_len1500_factors_5_10_10_3_wgs_150_tpt_150_halfLds_half_ip_CI_unitstride_sbrr_C2R_dirReg ; -- Begin function fft_rtc_back_len1500_factors_5_10_10_3_wgs_150_tpt_150_halfLds_half_ip_CI_unitstride_sbrr_C2R_dirReg
	.globl	fft_rtc_back_len1500_factors_5_10_10_3_wgs_150_tpt_150_halfLds_half_ip_CI_unitstride_sbrr_C2R_dirReg
	.p2align	8
	.type	fft_rtc_back_len1500_factors_5_10_10_3_wgs_150_tpt_150_halfLds_half_ip_CI_unitstride_sbrr_C2R_dirReg,@function
fft_rtc_back_len1500_factors_5_10_10_3_wgs_150_tpt_150_halfLds_half_ip_CI_unitstride_sbrr_C2R_dirReg: ; @fft_rtc_back_len1500_factors_5_10_10_3_wgs_150_tpt_150_halfLds_half_ip_CI_unitstride_sbrr_C2R_dirReg
; %bb.0:
	s_load_dwordx2 s[8:9], s[0:1], 0x50
	s_load_dwordx4 s[4:7], s[0:1], 0x0
	s_load_dwordx2 s[10:11], s[0:1], 0x18
	v_mul_u32_u24_e32 v1, 0x1b5, v0
	v_add_u32_sdwa v6, s2, v1 dst_sel:DWORD dst_unused:UNUSED_PAD src0_sel:DWORD src1_sel:WORD_1
	v_mov_b32_e32 v4, 0
	s_waitcnt lgkmcnt(0)
	v_cmp_lt_u64_e64 s[2:3], s[6:7], 2
	v_mov_b32_e32 v7, v4
	s_and_b64 vcc, exec, s[2:3]
	v_mov_b64_e32 v[2:3], 0
	s_cbranch_vccnz .LBB0_8
; %bb.1:
	s_load_dwordx2 s[2:3], s[0:1], 0x10
	s_add_u32 s12, s10, 8
	s_addc_u32 s13, s11, 0
	s_mov_b64 s[14:15], 1
	v_mov_b64_e32 v[2:3], 0
	s_waitcnt lgkmcnt(0)
	s_add_u32 s16, s2, 8
	s_addc_u32 s17, s3, 0
.LBB0_2:                                ; =>This Inner Loop Header: Depth=1
	s_load_dwordx2 s[18:19], s[16:17], 0x0
                                        ; implicit-def: $vgpr8_vgpr9
	s_waitcnt lgkmcnt(0)
	v_or_b32_e32 v5, s19, v7
	v_cmp_ne_u64_e32 vcc, 0, v[4:5]
	s_and_saveexec_b64 s[2:3], vcc
	s_xor_b64 s[20:21], exec, s[2:3]
	s_cbranch_execz .LBB0_4
; %bb.3:                                ;   in Loop: Header=BB0_2 Depth=1
	v_cvt_f32_u32_e32 v1, s18
	v_cvt_f32_u32_e32 v5, s19
	s_sub_u32 s2, 0, s18
	s_subb_u32 s3, 0, s19
	v_fmac_f32_e32 v1, 0x4f800000, v5
	v_rcp_f32_e32 v1, v1
	s_nop 0
	v_mul_f32_e32 v1, 0x5f7ffffc, v1
	v_mul_f32_e32 v5, 0x2f800000, v1
	v_trunc_f32_e32 v5, v5
	v_fmac_f32_e32 v1, 0xcf800000, v5
	v_cvt_u32_f32_e32 v5, v5
	v_cvt_u32_f32_e32 v1, v1
	v_mul_lo_u32 v8, s2, v5
	v_mul_hi_u32 v10, s2, v1
	v_mul_lo_u32 v9, s3, v1
	v_add_u32_e32 v10, v10, v8
	v_mul_lo_u32 v12, s2, v1
	v_add_u32_e32 v13, v10, v9
	v_mul_hi_u32 v8, v1, v12
	v_mul_hi_u32 v11, v1, v13
	v_mul_lo_u32 v10, v1, v13
	v_mov_b32_e32 v9, v4
	v_lshl_add_u64 v[8:9], v[8:9], 0, v[10:11]
	v_mul_hi_u32 v11, v5, v12
	v_mul_lo_u32 v12, v5, v12
	v_add_co_u32_e32 v8, vcc, v8, v12
	v_mul_hi_u32 v10, v5, v13
	s_nop 0
	v_addc_co_u32_e32 v8, vcc, v9, v11, vcc
	v_mov_b32_e32 v9, v4
	s_nop 0
	v_addc_co_u32_e32 v11, vcc, 0, v10, vcc
	v_mul_lo_u32 v10, v5, v13
	v_lshl_add_u64 v[8:9], v[8:9], 0, v[10:11]
	v_add_co_u32_e32 v1, vcc, v1, v8
	v_mul_lo_u32 v10, s2, v1
	s_nop 0
	v_addc_co_u32_e32 v5, vcc, v5, v9, vcc
	v_mul_lo_u32 v8, s2, v5
	v_mul_hi_u32 v9, s2, v1
	v_add_u32_e32 v8, v9, v8
	v_mul_lo_u32 v9, s3, v1
	v_add_u32_e32 v12, v8, v9
	v_mul_hi_u32 v14, v5, v10
	v_mul_lo_u32 v15, v5, v10
	v_mul_hi_u32 v9, v1, v12
	v_mul_lo_u32 v8, v1, v12
	v_mul_hi_u32 v10, v1, v10
	v_mov_b32_e32 v11, v4
	v_lshl_add_u64 v[8:9], v[10:11], 0, v[8:9]
	v_add_co_u32_e32 v8, vcc, v8, v15
	v_mul_hi_u32 v13, v5, v12
	s_nop 0
	v_addc_co_u32_e32 v8, vcc, v9, v14, vcc
	v_mul_lo_u32 v10, v5, v12
	s_nop 0
	v_addc_co_u32_e32 v11, vcc, 0, v13, vcc
	v_mov_b32_e32 v9, v4
	v_lshl_add_u64 v[8:9], v[8:9], 0, v[10:11]
	v_add_co_u32_e32 v1, vcc, v1, v8
	v_mul_hi_u32 v10, v6, v1
	s_nop 0
	v_addc_co_u32_e32 v5, vcc, v5, v9, vcc
	v_mad_u64_u32 v[8:9], s[2:3], v6, v5, 0
	v_mov_b32_e32 v11, v4
	v_lshl_add_u64 v[8:9], v[10:11], 0, v[8:9]
	v_mad_u64_u32 v[12:13], s[2:3], v7, v1, 0
	v_add_co_u32_e32 v1, vcc, v8, v12
	v_mad_u64_u32 v[10:11], s[2:3], v7, v5, 0
	s_nop 0
	v_addc_co_u32_e32 v8, vcc, v9, v13, vcc
	v_mov_b32_e32 v9, v4
	s_nop 0
	v_addc_co_u32_e32 v11, vcc, 0, v11, vcc
	v_lshl_add_u64 v[8:9], v[8:9], 0, v[10:11]
	v_mul_lo_u32 v1, s19, v8
	v_mul_lo_u32 v5, s18, v9
	v_mad_u64_u32 v[10:11], s[2:3], s18, v8, 0
	v_add3_u32 v1, v11, v5, v1
	v_sub_u32_e32 v5, v7, v1
	v_mov_b32_e32 v11, s19
	v_sub_co_u32_e32 v14, vcc, v6, v10
	v_lshl_add_u64 v[12:13], v[8:9], 0, 1
	s_nop 0
	v_subb_co_u32_e64 v5, s[2:3], v5, v11, vcc
	v_subrev_co_u32_e64 v10, s[2:3], s18, v14
	v_subb_co_u32_e32 v1, vcc, v7, v1, vcc
	s_nop 0
	v_subbrev_co_u32_e64 v5, s[2:3], 0, v5, s[2:3]
	v_cmp_le_u32_e64 s[2:3], s19, v5
	v_cmp_le_u32_e32 vcc, s19, v1
	s_nop 0
	v_cndmask_b32_e64 v11, 0, -1, s[2:3]
	v_cmp_le_u32_e64 s[2:3], s18, v10
	s_nop 1
	v_cndmask_b32_e64 v10, 0, -1, s[2:3]
	v_cmp_eq_u32_e64 s[2:3], s19, v5
	s_nop 1
	v_cndmask_b32_e64 v5, v11, v10, s[2:3]
	v_lshl_add_u64 v[10:11], v[8:9], 0, 2
	v_cmp_ne_u32_e64 s[2:3], 0, v5
	s_nop 1
	v_cndmask_b32_e64 v5, v13, v11, s[2:3]
	v_cndmask_b32_e64 v11, 0, -1, vcc
	v_cmp_le_u32_e32 vcc, s18, v14
	s_nop 1
	v_cndmask_b32_e64 v13, 0, -1, vcc
	v_cmp_eq_u32_e32 vcc, s19, v1
	s_nop 1
	v_cndmask_b32_e32 v1, v11, v13, vcc
	v_cmp_ne_u32_e32 vcc, 0, v1
	v_cndmask_b32_e64 v1, v12, v10, s[2:3]
	s_nop 0
	v_cndmask_b32_e32 v9, v9, v5, vcc
	v_cndmask_b32_e32 v8, v8, v1, vcc
.LBB0_4:                                ;   in Loop: Header=BB0_2 Depth=1
	s_andn2_saveexec_b64 s[2:3], s[20:21]
	s_cbranch_execz .LBB0_6
; %bb.5:                                ;   in Loop: Header=BB0_2 Depth=1
	v_cvt_f32_u32_e32 v1, s18
	s_sub_i32 s20, 0, s18
	v_rcp_iflag_f32_e32 v1, v1
	s_nop 0
	v_mul_f32_e32 v1, 0x4f7ffffe, v1
	v_cvt_u32_f32_e32 v1, v1
	v_mul_lo_u32 v5, s20, v1
	v_mul_hi_u32 v5, v1, v5
	v_add_u32_e32 v1, v1, v5
	v_mul_hi_u32 v1, v6, v1
	v_mul_lo_u32 v5, v1, s18
	v_sub_u32_e32 v5, v6, v5
	v_add_u32_e32 v8, 1, v1
	v_subrev_u32_e32 v9, s18, v5
	v_cmp_le_u32_e32 vcc, s18, v5
	s_nop 1
	v_cndmask_b32_e32 v5, v5, v9, vcc
	v_cndmask_b32_e32 v1, v1, v8, vcc
	v_add_u32_e32 v8, 1, v1
	v_cmp_le_u32_e32 vcc, s18, v5
	v_mov_b32_e32 v9, v4
	s_nop 0
	v_cndmask_b32_e32 v8, v1, v8, vcc
.LBB0_6:                                ;   in Loop: Header=BB0_2 Depth=1
	s_or_b64 exec, exec, s[2:3]
	v_mad_u64_u32 v[10:11], s[2:3], v8, s18, 0
	s_load_dwordx2 s[2:3], s[12:13], 0x0
	v_mul_lo_u32 v1, v9, s18
	v_mul_lo_u32 v5, v8, s19
	v_add3_u32 v1, v11, v5, v1
	v_sub_co_u32_e32 v5, vcc, v6, v10
	s_add_u32 s14, s14, 1
	s_nop 0
	v_subb_co_u32_e32 v1, vcc, v7, v1, vcc
	s_addc_u32 s15, s15, 0
	s_waitcnt lgkmcnt(0)
	v_mul_lo_u32 v1, s2, v1
	v_mul_lo_u32 v6, s3, v5
	v_mad_u64_u32 v[2:3], s[2:3], s2, v5, v[2:3]
	s_add_u32 s12, s12, 8
	v_add3_u32 v3, v6, v3, v1
	s_addc_u32 s13, s13, 0
	v_mov_b64_e32 v[6:7], s[6:7]
	s_add_u32 s16, s16, 8
	v_cmp_ge_u64_e32 vcc, s[14:15], v[6:7]
	s_addc_u32 s17, s17, 0
	s_cbranch_vccnz .LBB0_9
; %bb.7:                                ;   in Loop: Header=BB0_2 Depth=1
	v_mov_b64_e32 v[6:7], v[8:9]
	s_branch .LBB0_2
.LBB0_8:
	v_mov_b64_e32 v[8:9], v[6:7]
.LBB0_9:
	s_lshl_b64 s[2:3], s[6:7], 3
	s_add_u32 s2, s10, s2
	s_addc_u32 s3, s11, s3
	s_load_dwordx2 s[6:7], s[2:3], 0x0
	s_load_dwordx2 s[10:11], s[0:1], 0x20
	s_mov_b32 s2, 0x1b4e81c
	s_waitcnt lgkmcnt(0)
	v_mul_lo_u32 v1, s6, v9
	v_mul_lo_u32 v4, s7, v8
	v_mad_u64_u32 v[2:3], s[0:1], s6, v8, v[2:3]
	v_add3_u32 v3, v4, v3, v1
	v_mul_hi_u32 v1, v0, s2
	v_mul_u32_u24_e32 v1, 0x96, v1
	v_cmp_gt_u64_e64 s[0:1], s[10:11], v[8:9]
	v_sub_u32_e32 v0, v0, v1
	v_lshl_add_u64 v[2:3], v[2:3], 2, s[8:9]
	s_and_saveexec_b64 s[2:3], s[0:1]
	s_cbranch_execz .LBB0_13
; %bb.10:
	v_mov_b32_e32 v1, 0
	v_lshl_add_u64 v[4:5], v[0:1], 2, v[2:3]
	v_add_co_u32_e32 v6, vcc, 0x1000, v4
	s_movk_i32 s6, 0x95
	s_nop 0
	v_addc_co_u32_e32 v7, vcc, 0, v5, vcc
	global_load_dword v8, v[4:5], off
	global_load_dword v9, v[4:5], off offset:600
	global_load_dword v10, v[4:5], off offset:1200
	;; [unrolled: 1-line block ×9, first 2 shown]
	v_lshl_add_u32 v4, v0, 2, 0
	v_cmp_eq_u32_e32 vcc, s6, v0
	v_add_u32_e32 v5, 0x400, v4
	v_add_u32_e32 v6, 0x800, v4
	;; [unrolled: 1-line block ×4, first 2 shown]
	s_waitcnt vmcnt(8)
	ds_write2_b32 v4, v8, v9 offset1:150
	s_waitcnt vmcnt(6)
	ds_write2_b32 v5, v10, v11 offset0:44 offset1:194
	s_waitcnt vmcnt(4)
	ds_write2_b32 v6, v12, v13 offset0:88 offset1:238
	;; [unrolled: 2-line block ×4, first 2 shown]
	s_and_saveexec_b64 s[6:7], vcc
	s_cbranch_execz .LBB0_12
; %bb.11:
	v_add_co_u32_e32 v4, vcc, 0x1000, v2
	s_nop 1
	v_addc_co_u32_e32 v5, vcc, 0, v3, vcc
	global_load_dword v0, v[4:5], off offset:1904
	s_waitcnt vmcnt(0)
	ds_write_b32 v1, v0 offset:6000
	v_mov_b32_e32 v0, 0x95
.LBB0_12:
	s_or_b64 exec, exec, s[6:7]
.LBB0_13:
	s_or_b64 exec, exec, s[2:3]
	v_lshlrev_b32_e32 v1, 2, v0
	v_add_u32_e32 v14, 0, v1
	s_waitcnt lgkmcnt(0)
	s_barrier
	v_sub_u32_e32 v6, 0, v1
	ds_read_u16 v9, v14
	ds_read_u16 v10, v6 offset:6000
	s_add_u32 s2, s4, 0x175c
	s_addc_u32 s3, s5, 0
	v_cmp_ne_u32_e32 vcc, 0, v0
                                        ; implicit-def: $vgpr4_vgpr5
	s_waitcnt lgkmcnt(0)
	v_add_f16_e32 v7, v10, v9
	v_sub_f16_e32 v8, v9, v10
	s_and_saveexec_b64 s[6:7], vcc
	s_xor_b64 s[6:7], exec, s[6:7]
	s_cbranch_execz .LBB0_15
; %bb.14:
	v_mov_b32_e32 v1, 0
	v_lshl_add_u64 v[4:5], v[0:1], 2, s[2:3]
	global_load_dword v4, v[4:5], off
	ds_read_u16 v5, v6 offset:6002
	ds_read_u16 v7, v14 offset:2
	v_add_f16_e32 v8, v10, v9
	v_sub_f16_e32 v9, v9, v10
	s_waitcnt lgkmcnt(0)
	v_add_f16_e32 v10, v5, v7
	v_sub_f16_e32 v5, v7, v5
	s_waitcnt vmcnt(0)
	v_lshrrev_b32_e32 v7, 16, v4
	v_fma_f16 v11, v9, v7, v8
	v_fma_f16 v12, v10, v7, v5
	v_fma_f16 v13, -v9, v7, v8
	v_fma_f16 v5, v10, v7, -v5
	v_fma_f16 v7, -v4, v10, v11
	v_fma_f16 v8, v9, v4, v12
	v_fma_f16 v10, v4, v10, v13
	;; [unrolled: 1-line block ×3, first 2 shown]
	v_pack_b32_f16 v4, v10, v4
	ds_write_b32 v6, v4 offset:6000
	v_mov_b64_e32 v[4:5], v[0:1]
.LBB0_15:
	s_andn2_saveexec_b64 s[6:7], s[6:7]
	s_cbranch_execz .LBB0_17
; %bb.16:
	v_mov_b32_e32 v1, 0
	ds_read_b32 v4, v1 offset:3000
	s_mov_b32 s8, 0xc0004000
	s_waitcnt lgkmcnt(0)
	v_pk_mul_f16 v4, v4, s8
	ds_write_b32 v1, v4 offset:3000
	v_mov_b64_e32 v[4:5], 0
.LBB0_17:
	s_or_b64 exec, exec, s[6:7]
	v_lshl_add_u64 v[4:5], v[4:5], 2, s[2:3]
	global_load_dword v1, v[4:5], off offset:600
	global_load_dword v9, v[4:5], off offset:1200
	;; [unrolled: 1-line block ×4, first 2 shown]
	s_mov_b32 s6, 0x5040100
	v_perm_b32 v4, v8, v7, s6
	ds_write_b32 v14, v4
	ds_read_b32 v4, v14 offset:600
	ds_read_b32 v5, v6 offset:5400
	v_add_u32_e32 v24, 0x800, v14
	v_add_u32_e32 v25, 0x1200, v14
	s_movk_i32 s2, 0x3b9c
	s_movk_i32 s3, 0x38b4
	s_waitcnt lgkmcnt(0)
	v_add_f16_e32 v7, v4, v5
	v_add_f16_sdwa v8, v5, v4 dst_sel:DWORD dst_unused:UNUSED_PAD src0_sel:WORD_1 src1_sel:WORD_1
	v_sub_f16_e32 v12, v4, v5
	v_sub_f16_sdwa v4, v4, v5 dst_sel:DWORD dst_unused:UNUSED_PAD src0_sel:WORD_1 src1_sel:WORD_1
	s_mov_b32 s8, 0xffff
	s_movk_i32 s7, 0x34f2
	v_lshl_add_u32 v16, v0, 4, v14
	s_mov_b32 s9, 0xbb9c
	s_mov_b32 s11, 0xb4f2
	;; [unrolled: 1-line block ×3, first 2 shown]
	s_movk_i32 s10, 0x3a79
	s_mov_b32 s13, 0x7060302
	v_cmp_gt_u32_e32 vcc, 50, v0
	s_waitcnt vmcnt(3)
	v_lshrrev_b32_e32 v5, 16, v1
	v_fma_f16 v13, v12, v5, v7
	v_fma_f16 v15, v8, v5, v4
	v_fma_f16 v7, -v12, v5, v7
	v_fma_f16 v4, v8, v5, -v4
	v_fma_f16 v5, -v1, v8, v13
	v_fma_f16 v13, v12, v1, v15
	v_fma_f16 v7, v1, v8, v7
	;; [unrolled: 1-line block ×3, first 2 shown]
	v_pack_b32_f16 v4, v5, v13
	v_pack_b32_f16 v1, v7, v1
	ds_write_b32 v14, v4 offset:600
	ds_write_b32 v6, v1 offset:5400
	ds_read_b32 v1, v14 offset:1200
	ds_read_b32 v4, v6 offset:4800
	s_waitcnt vmcnt(2)
	v_lshrrev_b32_e32 v5, 16, v9
	v_add_u32_e32 v15, 0xe00, v14
	s_waitcnt lgkmcnt(0)
	v_add_f16_e32 v7, v1, v4
	v_add_f16_sdwa v8, v4, v1 dst_sel:DWORD dst_unused:UNUSED_PAD src0_sel:WORD_1 src1_sel:WORD_1
	v_sub_f16_e32 v12, v1, v4
	v_sub_f16_sdwa v1, v1, v4 dst_sel:DWORD dst_unused:UNUSED_PAD src0_sel:WORD_1 src1_sel:WORD_1
	v_fma_f16 v4, v12, v5, v7
	v_fma_f16 v13, v8, v5, v1
	v_fma_f16 v7, -v12, v5, v7
	v_fma_f16 v1, v8, v5, -v1
	v_fma_f16 v4, -v9, v8, v4
	v_fma_f16 v5, v12, v9, v13
	v_fma_f16 v7, v9, v8, v7
	;; [unrolled: 1-line block ×3, first 2 shown]
	v_pack_b32_f16 v4, v4, v5
	v_pack_b32_f16 v1, v7, v1
	ds_write_b32 v14, v4 offset:1200
	ds_write_b32 v6, v1 offset:4800
	ds_read_b32 v4, v14 offset:1800
	ds_read_b32 v5, v6 offset:4200
	s_waitcnt vmcnt(1)
	v_lshrrev_b32_e32 v7, 16, v10
	v_add_u32_e32 v1, 0x400, v14
	s_waitcnt lgkmcnt(0)
	v_add_f16_e32 v8, v4, v5
	v_add_f16_sdwa v9, v5, v4 dst_sel:DWORD dst_unused:UNUSED_PAD src0_sel:WORD_1 src1_sel:WORD_1
	v_sub_f16_e32 v12, v4, v5
	v_sub_f16_sdwa v4, v4, v5 dst_sel:DWORD dst_unused:UNUSED_PAD src0_sel:WORD_1 src1_sel:WORD_1
	v_fma_f16 v5, v12, v7, v8
	v_fma_f16 v13, v9, v7, v4
	v_fma_f16 v8, -v12, v7, v8
	v_fma_f16 v4, v9, v7, -v4
	v_fma_f16 v5, -v10, v9, v5
	v_fma_f16 v7, v12, v10, v13
	v_fma_f16 v8, v10, v9, v8
	;; [unrolled: 1-line block ×3, first 2 shown]
	v_pack_b32_f16 v5, v5, v7
	v_pack_b32_f16 v4, v8, v4
	ds_write_b32 v14, v5 offset:1800
	ds_write_b32 v6, v4 offset:4200
	ds_read_b32 v4, v14 offset:2400
	ds_read_b32 v5, v6 offset:3600
	s_waitcnt vmcnt(0)
	v_lshrrev_b32_e32 v7, 16, v11
	s_waitcnt lgkmcnt(0)
	v_add_f16_e32 v8, v4, v5
	v_add_f16_sdwa v9, v5, v4 dst_sel:DWORD dst_unused:UNUSED_PAD src0_sel:WORD_1 src1_sel:WORD_1
	v_sub_f16_e32 v10, v4, v5
	v_sub_f16_sdwa v4, v4, v5 dst_sel:DWORD dst_unused:UNUSED_PAD src0_sel:WORD_1 src1_sel:WORD_1
	v_fma_f16 v5, v10, v7, v8
	v_fma_f16 v12, v9, v7, v4
	v_fma_f16 v8, -v10, v7, v8
	v_fma_f16 v4, v9, v7, -v4
	v_fma_f16 v5, -v11, v9, v5
	v_fma_f16 v7, v10, v11, v12
	v_fma_f16 v8, v11, v9, v8
	;; [unrolled: 1-line block ×3, first 2 shown]
	v_pack_b32_f16 v5, v5, v7
	v_pack_b32_f16 v4, v8, v4
	ds_write_b32 v14, v5 offset:2400
	ds_write_b32 v6, v4 offset:3600
	s_waitcnt lgkmcnt(0)
	s_barrier
	s_barrier
	ds_read2_b32 v[4:5], v1 offset0:44 offset1:194
	ds_read2_b32 v[6:7], v24 offset0:88 offset1:238
	;; [unrolled: 1-line block ×4, first 2 shown]
	ds_read2_b32 v[12:13], v14 offset1:150
	s_waitcnt lgkmcnt(0)
	v_pk_add_f16 v21, v4, v6 neg_lo:[0,1] neg_hi:[0,1]
	v_pk_add_f16 v17, v6, v8 neg_lo:[0,1] neg_hi:[0,1]
	;; [unrolled: 1-line block ×3, first 2 shown]
	v_pk_add_f16 v19, v4, v10
	v_pk_add_f16 v20, v6, v8
	v_pk_add_f16 v22, v6, v4 neg_lo:[0,1] neg_hi:[0,1]
	v_pk_add_f16 v4, v12, v4
	v_pk_fma_f16 v20, v20, 0.5, v12 op_sel_hi:[1,0,1] neg_lo:[1,0,0] neg_hi:[1,0,0]
	v_pk_fma_f16 v12, v19, 0.5, v12 op_sel_hi:[1,0,1] neg_lo:[1,0,0] neg_hi:[1,0,0]
	v_pk_mul_f16 v27, v17, s2 op_sel_hi:[1,0]
	v_pk_add_f16 v4, v4, v6
	v_pk_add_f16 v23, v10, v8 neg_lo:[0,1] neg_hi:[0,1]
	v_pk_add_f16 v26, v8, v10 neg_lo:[0,1] neg_hi:[0,1]
	v_pk_mul_f16 v19, v18, s2 op_sel_hi:[1,0]
	v_pk_mul_f16 v18, v18, s3 op_sel_hi:[1,0]
	v_pk_add_f16 v4, v4, v8
	v_pk_add_f16 v6, v12, v27 op_sel:[0,1] op_sel_hi:[1,0] neg_lo:[0,1] neg_hi:[0,1]
	v_pk_add_f16 v8, v12, v27 op_sel:[0,1] op_sel_hi:[1,0]
	v_pk_mul_f16 v17, v17, s3 op_sel_hi:[1,0]
	v_pk_add_f16 v8, v8, v18 op_sel:[0,1] op_sel_hi:[1,0] neg_lo:[0,1] neg_hi:[0,1]
	v_pk_add_f16 v6, v6, v18 op_sel:[0,1] op_sel_hi:[1,0]
	v_pk_add_f16 v12, v20, v19 op_sel:[0,1] op_sel_hi:[1,0]
	v_pk_add_f16 v18, v20, v19 op_sel:[0,1] op_sel_hi:[1,0] neg_lo:[0,1] neg_hi:[0,1]
	v_pk_add_f16 v12, v12, v17 op_sel:[0,1] op_sel_hi:[1,0]
	v_pk_add_f16 v17, v18, v17 op_sel:[0,1] op_sel_hi:[1,0] neg_lo:[0,1] neg_hi:[0,1]
	v_pk_add_f16 v21, v21, v23
	v_bfi_b32 v18, s8, v12, v17
	v_bfi_b32 v12, s8, v17, v12
	v_pk_add_f16 v22, v22, v26
	v_pk_add_f16 v4, v4, v10
	v_bfi_b32 v10, s8, v6, v8
	v_pk_fma_f16 v18, v21, s7, v18 op_sel_hi:[1,0,1]
	v_pk_fma_f16 v12, v21, s7, v12 op_sel_hi:[1,0,1]
	v_bfi_b32 v6, s8, v8, v6
	v_pk_add_f16 v19, v7, v9 neg_lo:[0,1] neg_hi:[0,1]
	v_pk_add_f16 v20, v5, v11 neg_lo:[0,1] neg_hi:[0,1]
	v_pk_add_f16 v21, v5, v11
	v_pk_add_f16 v27, v5, v7 neg_lo:[0,1] neg_hi:[0,1]
	v_pk_add_f16 v28, v7, v5 neg_lo:[0,1] neg_hi:[0,1]
	v_pk_add_f16 v5, v13, v5
	v_pk_fma_f16 v10, v22, s7, v10 op_sel_hi:[1,0,1]
	v_pk_fma_f16 v6, v22, s7, v6 op_sel_hi:[1,0,1]
	v_pk_add_f16 v22, v7, v9
	v_pk_fma_f16 v21, v21, 0.5, v13 op_sel_hi:[1,0,1] neg_lo:[1,0,0] neg_hi:[1,0,0]
	v_pk_mul_f16 v26, v19, s2 op_sel_hi:[1,0]
	v_pk_add_f16 v5, v5, v7
	v_pk_fma_f16 v22, v22, 0.5, v13 op_sel_hi:[1,0,1] neg_lo:[1,0,0] neg_hi:[1,0,0]
	v_pk_mul_f16 v23, v20, s2 op_sel_hi:[1,0]
	v_pk_mul_f16 v20, v20, s3 op_sel_hi:[1,0]
	v_pk_add_f16 v29, v11, v9 neg_lo:[0,1] neg_hi:[0,1]
	v_pk_add_f16 v30, v9, v11 neg_lo:[0,1] neg_hi:[0,1]
	v_pk_add_f16 v5, v5, v9
	v_pk_add_f16 v7, v21, v26 op_sel:[0,1] op_sel_hi:[1,0] neg_lo:[0,1] neg_hi:[0,1]
	v_pk_add_f16 v9, v21, v26 op_sel:[0,1] op_sel_hi:[1,0]
	v_pk_mul_f16 v19, v19, s3 op_sel_hi:[1,0]
	v_pk_add_f16 v9, v9, v20 op_sel:[0,1] op_sel_hi:[1,0] neg_lo:[0,1] neg_hi:[0,1]
	v_pk_add_f16 v7, v7, v20 op_sel:[0,1] op_sel_hi:[1,0]
	v_pk_add_f16 v13, v22, v23 op_sel:[0,1] op_sel_hi:[1,0]
	v_pk_add_f16 v20, v22, v23 op_sel:[0,1] op_sel_hi:[1,0] neg_lo:[0,1] neg_hi:[0,1]
	v_pk_add_f16 v13, v13, v19 op_sel:[0,1] op_sel_hi:[1,0]
	v_pk_add_f16 v19, v20, v19 op_sel:[0,1] op_sel_hi:[1,0] neg_lo:[0,1] neg_hi:[0,1]
	v_pk_add_f16 v27, v27, v29
	s_barrier
	ds_write2_b32 v16, v4, v12 offset1:1
	ds_write_b32 v16, v6 offset:8
	ds_write2_b32 v16, v10, v18 offset0:3 offset1:4
	v_bfi_b32 v4, s8, v19, v13
	v_add_u32_e32 v8, 0xbb8, v16
	v_pk_add_f16 v5, v5, v11
	v_pk_fma_f16 v4, v27, s7, v4 op_sel_hi:[1,0,1]
	v_pk_add_f16 v28, v28, v30
	ds_write2_b32 v8, v5, v4 offset1:1
	v_bfi_b32 v4, s8, v9, v7
	v_bfi_b32 v11, s8, v7, v9
	;; [unrolled: 1-line block ×3, first 2 shown]
	v_pk_fma_f16 v4, v28, s7, v4 op_sel_hi:[1,0,1]
	s_movk_i32 s8, 0xcd
	v_add_u32_e32 v17, 0xbc4, v16
	v_pk_fma_f16 v20, v27, s7, v20 op_sel_hi:[1,0,1]
	v_pk_fma_f16 v11, v28, s7, v11 op_sel_hi:[1,0,1]
	ds_write_b32 v16, v4 offset:3008
	ds_write2_b32 v17, v11, v20 offset1:1
	v_mul_lo_u16_sdwa v4, v0, s8 dst_sel:DWORD dst_unused:UNUSED_PAD src0_sel:BYTE_0 src1_sel:DWORD
	v_lshrrev_b16_e32 v26, 10, v4
	v_mul_lo_u16_e32 v4, 5, v26
	v_sub_u16_e32 v27, v0, v4
	v_mov_b32_e32 v28, 9
	v_mul_u32_u24_sdwa v4, v27, v28 dst_sel:DWORD dst_unused:UNUSED_PAD src0_sel:BYTE_0 src1_sel:DWORD
	v_lshlrev_b32_e32 v12, 2, v4
	s_waitcnt lgkmcnt(0)
	s_barrier
	global_load_dwordx4 v[4:7], v12, s[4:5]
	global_load_dwordx4 v[8:11], v12, s[4:5] offset:16
	global_load_dword v29, v12, s[4:5] offset:32
	ds_read2_b32 v[12:13], v14 offset1:150
	ds_read2_b32 v[16:17], v15 offset0:4 offset1:154
	ds_read2_b32 v[18:19], v25 offset0:48 offset1:198
	;; [unrolled: 1-line block ×4, first 2 shown]
	s_mov_b32 s8, 0xb8b4
	s_waitcnt lgkmcnt(0)
	v_lshrrev_b32_e32 v35, 16, v13
	v_lshrrev_b32_e32 v31, 16, v16
	v_lshrrev_b32_e32 v32, 16, v17
	v_lshrrev_b32_e32 v33, 16, v18
	v_lshrrev_b32_e32 v34, 16, v19
	v_lshrrev_b32_e32 v30, 16, v12
	s_barrier
	s_waitcnt vmcnt(2)
	v_mul_f16_sdwa v36, v4, v35 dst_sel:DWORD dst_unused:UNUSED_PAD src0_sel:WORD_1 src1_sel:DWORD
	v_fma_f16 v36, v4, v13, v36
	v_mul_f16_sdwa v13, v4, v13 dst_sel:DWORD dst_unused:UNUSED_PAD src0_sel:WORD_1 src1_sel:DWORD
	v_fma_f16 v4, v4, v35, -v13
	v_lshrrev_b32_e32 v13, 16, v20
	v_mul_f16_sdwa v35, v5, v13 dst_sel:DWORD dst_unused:UNUSED_PAD src0_sel:WORD_1 src1_sel:DWORD
	v_fma_f16 v35, v5, v20, v35
	v_mul_f16_sdwa v20, v5, v20 dst_sel:DWORD dst_unused:UNUSED_PAD src0_sel:WORD_1 src1_sel:DWORD
	v_fma_f16 v5, v5, v13, -v20
	v_lshrrev_b32_e32 v13, 16, v21
	;; [unrolled: 5-line block ×4, first 2 shown]
	s_waitcnt vmcnt(1)
	v_mul_f16_sdwa v22, v8, v13 dst_sel:DWORD dst_unused:UNUSED_PAD src0_sel:WORD_1 src1_sel:DWORD
	v_fma_f16 v22, v8, v23, v22
	v_mul_f16_sdwa v23, v8, v23 dst_sel:DWORD dst_unused:UNUSED_PAD src0_sel:WORD_1 src1_sel:DWORD
	v_fma_f16 v8, v8, v13, -v23
	v_mul_f16_sdwa v13, v31, v9 dst_sel:DWORD dst_unused:UNUSED_PAD src0_sel:DWORD src1_sel:WORD_1
	v_fma_f16 v13, v16, v9, v13
	v_mul_f16_sdwa v16, v16, v9 dst_sel:DWORD dst_unused:UNUSED_PAD src0_sel:DWORD src1_sel:WORD_1
	v_fma_f16 v9, v31, v9, -v16
	v_mul_f16_sdwa v16, v32, v10 dst_sel:DWORD dst_unused:UNUSED_PAD src0_sel:DWORD src1_sel:WORD_1
	v_fma_f16 v16, v17, v10, v16
	v_mul_f16_sdwa v17, v17, v10 dst_sel:DWORD dst_unused:UNUSED_PAD src0_sel:DWORD src1_sel:WORD_1
	;; [unrolled: 4-line block ×3, first 2 shown]
	v_fma_f16 v11, v33, v11, -v18
	s_waitcnt vmcnt(0)
	v_mul_f16_sdwa v18, v34, v29 dst_sel:DWORD dst_unused:UNUSED_PAD src0_sel:DWORD src1_sel:WORD_1
	v_fma_f16 v18, v19, v29, v18
	v_mul_f16_sdwa v19, v19, v29 dst_sel:DWORD dst_unused:UNUSED_PAD src0_sel:DWORD src1_sel:WORD_1
	v_fma_f16 v19, v34, v29, -v19
	v_add_f16_e32 v29, v21, v13
	v_fma_f16 v29, v29, -0.5, v12
	v_sub_f16_e32 v31, v5, v11
	v_fma_f16 v32, v31, s9, v29
	v_sub_f16_e32 v33, v7, v9
	v_sub_f16_e32 v34, v35, v21
	v_sub_f16_e32 v37, v17, v13
	v_fma_f16 v29, v31, s2, v29
	v_fma_f16 v32, v33, s8, v32
	v_add_f16_e32 v34, v34, v37
	v_fma_f16 v29, v33, s3, v29
	v_add_f16_e32 v23, v12, v35
	v_fma_f16 v32, v34, s7, v32
	v_fma_f16 v29, v34, s7, v29
	v_add_f16_e32 v34, v35, v17
	v_add_f16_e32 v23, v23, v21
	v_fma_f16 v12, v34, -0.5, v12
	v_add_f16_e32 v23, v23, v13
	v_fma_f16 v34, v33, s2, v12
	v_fma_f16 v12, v33, s9, v12
	v_add_f16_e32 v33, v7, v9
	v_add_f16_e32 v23, v23, v17
	v_sub_f16_e32 v37, v21, v35
	v_sub_f16_e32 v38, v13, v17
	v_fma_f16 v33, v33, -0.5, v30
	v_sub_f16_e32 v17, v35, v17
	v_fma_f16 v34, v31, s8, v34
	v_add_f16_e32 v37, v37, v38
	v_fma_f16 v12, v31, s3, v12
	v_fma_f16 v35, v17, s2, v33
	v_sub_f16_e32 v13, v21, v13
	v_fma_f16 v34, v37, s7, v34
	v_fma_f16 v12, v37, s7, v12
	;; [unrolled: 1-line block ×3, first 2 shown]
	v_sub_f16_e32 v35, v5, v7
	v_sub_f16_e32 v37, v11, v9
	v_fma_f16 v33, v17, s9, v33
	v_add_f16_e32 v31, v30, v5
	v_add_f16_e32 v35, v35, v37
	v_fma_f16 v33, v13, s8, v33
	v_add_f16_e32 v31, v31, v7
	v_fma_f16 v21, v35, s7, v21
	v_fma_f16 v33, v35, s7, v33
	v_add_f16_e32 v35, v5, v11
	v_add_f16_e32 v31, v31, v9
	v_fma_f16 v30, v35, -0.5, v30
	v_add_f16_e32 v31, v31, v11
	v_fma_f16 v35, v13, s9, v30
	v_sub_f16_e32 v5, v7, v5
	v_sub_f16_e32 v7, v9, v11
	v_add_f16_e32 v11, v22, v16
	v_fma_f16 v35, v17, s3, v35
	v_add_f16_e32 v5, v5, v7
	v_fma_f16 v9, v13, s2, v30
	v_fma_f16 v11, v11, -0.5, v36
	v_sub_f16_e32 v13, v6, v19
	v_fma_f16 v7, v5, s7, v35
	v_fma_f16 v9, v17, s8, v9
	;; [unrolled: 1-line block ×3, first 2 shown]
	v_sub_f16_e32 v30, v8, v10
	v_sub_f16_e32 v35, v20, v22
	;; [unrolled: 1-line block ×3, first 2 shown]
	v_fma_f16 v11, v13, s2, v11
	v_fma_f16 v17, v30, s8, v17
	v_add_f16_e32 v35, v35, v37
	v_fma_f16 v11, v30, s3, v11
	v_fma_f16 v5, v5, s7, v9
	v_add_f16_e32 v9, v36, v20
	;; [unrolled: 3-line block ×3, first 2 shown]
	v_add_f16_e32 v9, v9, v22
	v_fma_f16 v35, v35, -0.5, v36
	v_add_f16_e32 v9, v9, v16
	v_fma_f16 v36, v30, s2, v35
	v_sub_f16_e32 v37, v22, v20
	v_sub_f16_e32 v38, v16, v18
	v_fma_f16 v30, v30, s9, v35
	v_add_f16_e32 v35, v8, v10
	v_add_f16_e32 v9, v9, v18
	v_fma_f16 v36, v13, s8, v36
	v_add_f16_e32 v37, v37, v38
	v_fma_f16 v13, v13, s3, v30
	v_fma_f16 v35, v35, -0.5, v4
	v_sub_f16_e32 v18, v20, v18
	v_fma_f16 v36, v37, s7, v36
	v_fma_f16 v13, v37, s7, v13
	;; [unrolled: 1-line block ×3, first 2 shown]
	v_sub_f16_e32 v16, v22, v16
	v_sub_f16_e32 v22, v6, v8
	;; [unrolled: 1-line block ×3, first 2 shown]
	v_fma_f16 v35, v18, s9, v35
	v_fma_f16 v20, v16, s3, v20
	v_add_f16_e32 v22, v22, v37
	v_fma_f16 v35, v16, s8, v35
	v_fma_f16 v20, v22, s7, v20
	v_fma_f16 v22, v22, s7, v35
	v_add_f16_e32 v35, v6, v19
	v_add_f16_e32 v30, v4, v6
	v_fma_f16 v4, v35, -0.5, v4
	v_add_f16_e32 v30, v30, v8
	v_fma_f16 v35, v16, s9, v4
	v_sub_f16_e32 v6, v8, v6
	v_sub_f16_e32 v8, v10, v19
	v_fma_f16 v35, v18, s3, v35
	v_add_f16_e32 v6, v6, v8
	v_fma_f16 v4, v16, s2, v4
	v_fma_f16 v8, v6, s7, v35
	;; [unrolled: 1-line block ×4, first 2 shown]
	v_mul_f16_e32 v18, 0xbb9c, v8
	v_mul_f16_e32 v8, 0x34f2, v8
	;; [unrolled: 1-line block ×4, first 2 shown]
	v_fma_f16 v8, v36, s2, v8
	v_mul_f16_e32 v4, 0xb4f2, v4
	v_mul_f16_e32 v22, 0xba79, v22
	v_fma_f16 v18, v36, s7, v18
	v_fma_f16 v35, v13, s11, v35
	;; [unrolled: 1-line block ×3, first 2 shown]
	v_add_f16_e32 v36, v7, v8
	v_fma_f16 v4, v13, s2, v4
	v_fma_f16 v11, v11, s3, v22
	v_sub_f16_e32 v7, v7, v8
	v_mul_u32_u24_e32 v8, 0xc8, v26
	v_mov_b32_e32 v26, 2
	v_add_f16_e32 v6, v23, v9
	v_add_f16_e32 v37, v12, v35
	;; [unrolled: 1-line block ×4, first 2 shown]
	v_sub_f16_e32 v9, v23, v9
	v_sub_f16_e32 v12, v12, v35
	;; [unrolled: 1-line block ×5, first 2 shown]
	v_lshlrev_b32_sdwa v11, v26, v27 dst_sel:DWORD dst_unused:UNUSED_PAD src0_sel:DWORD src1_sel:BYTE_0
	v_add3_u32 v8, 0, v8, v11
	v_pack_b32_f16 v4, v12, v4
	v_pack_b32_f16 v5, v23, v5
	v_add_f16_e32 v30, v30, v10
	v_mul_f16_e32 v10, 0xb8b4, v20
	v_mul_f16_e32 v20, 0x3a79, v20
	ds_write2_b32 v8, v4, v5 offset0:40 offset1:45
	v_mov_b32_e32 v4, 41
	v_add_f16_e32 v30, v30, v19
	v_fma_f16 v10, v17, s10, v10
	v_fma_f16 v17, v17, s3, v20
	v_mul_lo_u16_sdwa v4, v0, v4 dst_sel:DWORD dst_unused:UNUSED_PAD src0_sel:BYTE_0 src1_sel:DWORD
	v_add_f16_e32 v16, v32, v10
	v_add_f16_e32 v40, v31, v30
	;; [unrolled: 1-line block ×3, first 2 shown]
	v_lshrrev_b16_e32 v27, 11, v4
	v_add_f16_e32 v19, v34, v18
	v_add_f16_e32 v39, v29, v38
	v_sub_f16_e32 v29, v31, v30
	v_pack_b32_f16 v6, v6, v40
	v_pack_b32_f16 v11, v16, v20
	v_mul_lo_u16_e32 v4, 50, v27
	ds_write2_b32 v8, v6, v11 offset1:5
	v_pack_b32_f16 v6, v19, v36
	v_pack_b32_f16 v11, v37, v13
	;; [unrolled: 1-line block ×3, first 2 shown]
	v_sub_u16_e32 v29, v0, v4
	v_sub_f16_e32 v10, v32, v10
	v_sub_f16_e32 v18, v34, v18
	;; [unrolled: 1-line block ×3, first 2 shown]
	ds_write2_b32 v8, v6, v11 offset0:10 offset1:15
	v_pack_b32_f16 v6, v39, v22
	v_mul_u32_u24_sdwa v4, v29, v28 dst_sel:DWORD dst_unused:UNUSED_PAD src0_sel:BYTE_0 src1_sel:DWORD
	ds_write2_b32 v8, v6, v9 offset0:20 offset1:25
	v_pack_b32_f16 v6, v10, v17
	v_pack_b32_f16 v7, v18, v7
	v_lshlrev_b32_e32 v12, 2, v4
	ds_write2_b32 v8, v6, v7 offset0:30 offset1:35
	s_waitcnt lgkmcnt(0)
	s_barrier
	global_load_dwordx4 v[4:7], v12, s[4:5] offset:180
	global_load_dwordx4 v[8:11], v12, s[4:5] offset:196
	global_load_dword v28, v12, s[4:5] offset:212
	ds_read2_b32 v[12:13], v14 offset1:150
	ds_read2_b32 v[16:17], v15 offset0:4 offset1:154
	ds_read2_b32 v[18:19], v25 offset0:48 offset1:198
	;; [unrolled: 1-line block ×4, first 2 shown]
	s_waitcnt lgkmcnt(0)
	s_barrier
	v_lshrrev_b32_e32 v31, 16, v18
	v_lshrrev_b32_e32 v24, 16, v16
	v_lshrrev_b32_e32 v25, 16, v17
	v_lshrrev_b32_e32 v32, 16, v19
	v_lshrrev_b32_e32 v30, 16, v12
	s_waitcnt vmcnt(2)
	v_pk_mul_f16 v33, v4, v13
	v_mul_f16_sdwa v34, v4, v13 dst_sel:DWORD dst_unused:UNUSED_PAD src0_sel:DWORD src1_sel:WORD_1
	v_lshrrev_b32_e32 v4, 16, v4
	v_mul_f16_sdwa v35, v5, v20 dst_sel:DWORD dst_unused:UNUSED_PAD src0_sel:WORD_1 src1_sel:WORD_1
	v_fma_f16 v4, -v4, v13, v34
	v_perm_b32 v13, v22, v20, s6
	v_perm_b32 v34, v22, v20, s13
	v_fma_f16 v20, v5, v20, v35
	v_mul_f16_sdwa v35, v7, v22 dst_sel:DWORD dst_unused:UNUSED_PAD src0_sel:WORD_1 src1_sel:WORD_1
	v_fma_f16 v22, v7, v22, v35
	v_perm_b32 v35, v7, v5, s6
	v_perm_b32 v5, v7, v5, s13
	v_pk_mul_f16 v5, v5, v13
	v_lshrrev_b32_e32 v7, 16, v21
	v_pk_fma_f16 v5, v35, v34, v5 neg_lo:[0,0,1] neg_hi:[0,0,1]
	v_perm_b32 v34, v23, v21, s13
	v_perm_b32 v35, v23, v21, s6
	v_mul_f16_sdwa v21, v6, v21 dst_sel:DWORD dst_unused:UNUSED_PAD src0_sel:WORD_1 src1_sel:DWORD
	v_fma_f16 v7, v6, v7, -v21
	s_waitcnt vmcnt(1)
	v_perm_b32 v21, v8, v6, s6
	v_perm_b32 v6, v8, v6, s13
	v_pk_mul_f16 v6, v6, v34
	v_lshrrev_b32_e32 v13, 16, v23
	v_pk_fma_f16 v6, v21, v35, v6
	v_mul_f16_sdwa v21, v8, v23 dst_sel:DWORD dst_unused:UNUSED_PAD src0_sel:WORD_1 src1_sel:DWORD
	v_fma_f16 v8, v8, v13, -v21
	v_mul_f16_sdwa v13, v24, v9 dst_sel:DWORD dst_unused:UNUSED_PAD src0_sel:DWORD src1_sel:WORD_1
	v_fma_f16 v13, v16, v9, v13
	v_mul_f16_sdwa v16, v16, v9 dst_sel:DWORD dst_unused:UNUSED_PAD src0_sel:DWORD src1_sel:WORD_1
	v_fma_f16 v9, v24, v9, -v16
	v_mul_f16_sdwa v16, v25, v10 dst_sel:DWORD dst_unused:UNUSED_PAD src0_sel:DWORD src1_sel:WORD_1
	v_fma_f16 v16, v17, v10, v16
	v_mul_f16_sdwa v17, v17, v10 dst_sel:DWORD dst_unused:UNUSED_PAD src0_sel:DWORD src1_sel:WORD_1
	;; [unrolled: 4-line block ×3, first 2 shown]
	v_fma_f16 v11, v31, v11, -v18
	s_waitcnt vmcnt(0)
	v_mul_f16_sdwa v18, v32, v28 dst_sel:DWORD dst_unused:UNUSED_PAD src0_sel:DWORD src1_sel:WORD_1
	v_add_f16_e32 v23, v22, v13
	v_fma_f16 v18, v19, v28, v18
	v_mul_f16_sdwa v19, v19, v28 dst_sel:DWORD dst_unused:UNUSED_PAD src0_sel:DWORD src1_sel:WORD_1
	v_fma_f16 v23, v23, -0.5, v12
	v_sub_f16_e32 v24, v5, v11
	v_fma_f16 v19, v32, v28, -v19
	v_fma_f16 v25, v24, s9, v23
	v_sub_f16_sdwa v28, v5, v9 dst_sel:DWORD dst_unused:UNUSED_PAD src0_sel:WORD_1 src1_sel:DWORD
	v_sub_f16_e32 v31, v20, v22
	v_sub_f16_e32 v32, v17, v13
	v_fma_f16 v23, v24, s2, v23
	v_fma_f16 v25, v28, s8, v25
	v_add_f16_e32 v31, v31, v32
	v_fma_f16 v23, v28, s3, v23
	v_add_f16_e32 v21, v12, v20
	v_fma_f16 v25, v31, s7, v25
	v_fma_f16 v23, v31, s7, v23
	v_add_f16_e32 v31, v20, v17
	v_add_f16_e32 v21, v21, v22
	v_fma_f16 v12, v31, -0.5, v12
	v_add_f16_e32 v21, v21, v13
	v_fma_f16 v31, v28, s2, v12
	v_sub_f16_e32 v32, v22, v20
	v_sub_f16_e32 v34, v13, v17
	v_fma_f16 v12, v28, s9, v12
	v_add_f16_sdwa v28, v5, v9 dst_sel:DWORD dst_unused:UNUSED_PAD src0_sel:WORD_1 src1_sel:DWORD
	v_add_f16_e32 v21, v21, v17
	v_fma_f16 v31, v24, s8, v31
	v_add_f16_e32 v32, v32, v34
	v_fma_f16 v12, v24, s3, v12
	v_fma_f16 v28, v28, -0.5, v30
	v_sub_f16_e32 v17, v20, v17
	v_fma_f16 v31, v32, s7, v31
	v_fma_f16 v12, v32, s7, v12
	;; [unrolled: 1-line block ×3, first 2 shown]
	v_sub_f16_e32 v13, v22, v13
	v_sub_f16_sdwa v22, v5, v5 dst_sel:DWORD dst_unused:UNUSED_PAD src0_sel:DWORD src1_sel:WORD_1
	v_sub_f16_e32 v32, v11, v9
	v_fma_f16 v28, v17, s9, v28
	v_add_f16_e32 v24, v30, v5
	v_fma_f16 v20, v13, s3, v20
	v_add_f16_e32 v22, v22, v32
	v_fma_f16 v28, v13, s8, v28
	v_add_f16_sdwa v24, v24, v5 dst_sel:DWORD dst_unused:UNUSED_PAD src0_sel:DWORD src1_sel:WORD_1
	v_fma_f16 v20, v22, s7, v20
	v_fma_f16 v22, v22, s7, v28
	v_add_f16_e32 v28, v5, v11
	v_add_f16_e32 v24, v24, v9
	v_fma_f16 v28, v28, -0.5, v30
	v_add_f16_sdwa v33, v33, v33 dst_sel:DWORD dst_unused:UNUSED_PAD src0_sel:DWORD src1_sel:WORD_1
	v_add_f16_e32 v24, v24, v11
	v_fma_f16 v30, v13, s9, v28
	v_sub_f16_sdwa v5, v5, v5 dst_sel:DWORD dst_unused:UNUSED_PAD src0_sel:WORD_1 src1_sel:DWORD
	v_sub_f16_e32 v9, v9, v11
	v_fma_f16 v11, v13, s2, v28
	v_add_f16_sdwa v13, v6, v16 dst_sel:DWORD dst_unused:UNUSED_PAD src0_sel:WORD_1 src1_sel:DWORD
	v_fma_f16 v30, v17, s3, v30
	v_add_f16_e32 v5, v5, v9
	v_fma_f16 v11, v17, s8, v11
	v_fma_f16 v13, v13, -0.5, v33
	v_sub_f16_e32 v17, v7, v19
	v_fma_f16 v9, v5, s7, v30
	v_fma_f16 v28, v17, s9, v13
	v_sub_f16_e32 v30, v8, v10
	v_sub_f16_sdwa v32, v6, v6 dst_sel:DWORD dst_unused:UNUSED_PAD src0_sel:DWORD src1_sel:WORD_1
	v_sub_f16_e32 v34, v18, v16
	v_fma_f16 v13, v17, s2, v13
	v_fma_f16 v28, v30, s8, v28
	v_add_f16_e32 v32, v32, v34
	v_fma_f16 v13, v30, s3, v13
	v_fma_f16 v5, v5, s7, v11
	v_add_f16_e32 v11, v33, v6
	;; [unrolled: 3-line block ×3, first 2 shown]
	v_add_f16_sdwa v11, v11, v6 dst_sel:DWORD dst_unused:UNUSED_PAD src0_sel:DWORD src1_sel:WORD_1
	v_fma_f16 v32, v32, -0.5, v33
	v_add_f16_e32 v11, v11, v16
	v_fma_f16 v33, v30, s2, v32
	v_sub_f16_sdwa v34, v6, v6 dst_sel:DWORD dst_unused:UNUSED_PAD src0_sel:WORD_1 src1_sel:DWORD
	v_sub_f16_e32 v35, v16, v18
	v_fma_f16 v30, v30, s9, v32
	v_add_f16_e32 v32, v8, v10
	v_add_f16_e32 v11, v11, v18
	v_fma_f16 v33, v17, s8, v33
	v_add_f16_e32 v34, v34, v35
	v_fma_f16 v17, v17, s3, v30
	v_fma_f16 v32, v32, -0.5, v4
	v_sub_f16_e32 v18, v6, v18
	v_fma_f16 v33, v34, s7, v33
	v_fma_f16 v17, v34, s7, v17
	v_fma_f16 v34, v18, s2, v32
	v_sub_f16_sdwa v6, v6, v16 dst_sel:DWORD dst_unused:UNUSED_PAD src0_sel:WORD_1 src1_sel:DWORD
	v_fma_f16 v16, v6, s3, v34
	v_sub_f16_e32 v34, v7, v8
	v_sub_f16_e32 v35, v19, v10
	v_fma_f16 v32, v18, s9, v32
	v_add_f16_e32 v34, v34, v35
	v_fma_f16 v32, v6, s8, v32
	v_fma_f16 v16, v34, s7, v16
	;; [unrolled: 1-line block ×3, first 2 shown]
	v_add_f16_e32 v34, v7, v19
	v_add_f16_e32 v30, v4, v7
	v_fma_f16 v4, v34, -0.5, v4
	v_add_f16_e32 v30, v30, v8
	v_fma_f16 v34, v6, s9, v4
	v_sub_f16_e32 v7, v8, v7
	v_sub_f16_e32 v8, v10, v19
	v_fma_f16 v4, v6, s2, v4
	v_fma_f16 v34, v18, s3, v34
	v_add_f16_e32 v7, v7, v8
	v_fma_f16 v4, v18, s8, v4
	v_fma_f16 v8, v7, s7, v34
	;; [unrolled: 1-line block ×3, first 2 shown]
	v_add_f16_e32 v30, v30, v10
	v_mul_f16_e32 v7, 0xb8b4, v16
	v_mul_f16_e32 v18, 0xbb9c, v8
	;; [unrolled: 1-line block ×6, first 2 shown]
	v_add_f16_e32 v30, v30, v19
	v_fma_f16 v7, v28, s10, v7
	v_fma_f16 v28, v28, s3, v16
	;; [unrolled: 1-line block ×4, first 2 shown]
	v_add_f16_e32 v6, v21, v11
	v_add_f16_e32 v10, v25, v7
	v_fma_f16 v18, v33, s7, v18
	v_fma_f16 v34, v17, s11, v34
	v_mul_f16_e32 v36, 0xb8b4, v32
	v_add_f16_e32 v38, v24, v30
	v_add_f16_e32 v39, v20, v28
	;; [unrolled: 1-line block ×4, first 2 shown]
	v_mul_f16_e32 v16, 0xba79, v32
	v_sub_f16_e32 v8, v9, v8
	v_sub_f16_e32 v4, v5, v4
	v_mul_u32_u24_e32 v5, 0x7d0, v27
	v_lshlrev_b32_sdwa v9, v26, v29 dst_sel:DWORD dst_unused:UNUSED_PAD src0_sel:DWORD src1_sel:BYTE_0
	v_add_f16_e32 v19, v31, v18
	v_add_f16_e32 v35, v12, v34
	v_fma_f16 v36, v13, s12, v36
	v_fma_f16 v13, v13, s3, v16
	v_add3_u32 v5, 0, v5, v9
	v_pack_b32_f16 v6, v6, v38
	v_pack_b32_f16 v9, v10, v39
	v_add_f16_e32 v37, v23, v36
	v_add_f16_e32 v32, v22, v13
	v_sub_f16_e32 v11, v21, v11
	v_sub_f16_e32 v21, v24, v30
	ds_write2_b32 v5, v6, v9 offset1:50
	v_pack_b32_f16 v6, v19, v33
	v_pack_b32_f16 v9, v35, v40
	v_sub_f16_e32 v7, v25, v7
	v_sub_f16_e32 v18, v31, v18
	;; [unrolled: 1-line block ×3, first 2 shown]
	ds_write2_b32 v5, v6, v9 offset0:100 offset1:150
	v_pack_b32_f16 v6, v37, v32
	v_pack_b32_f16 v9, v11, v21
	v_sub_f16_e32 v12, v12, v34
	v_sub_f16_e32 v16, v23, v36
	;; [unrolled: 1-line block ×3, first 2 shown]
	ds_write2_b32 v5, v6, v9 offset0:200 offset1:250
	v_pack_b32_f16 v6, v7, v20
	v_pack_b32_f16 v7, v18, v8
	v_add_u32_e32 v5, 0x400, v5
	ds_write2_b32 v5, v6, v7 offset0:44 offset1:94
	v_pack_b32_f16 v4, v12, v4
	v_pack_b32_f16 v6, v16, v17
	ds_write2_b32 v5, v4, v6 offset0:144 offset1:194
	s_waitcnt lgkmcnt(0)
	s_barrier
	ds_read2_b32 v[6:7], v14 offset1:150
	ds_read2_b32 v[4:5], v1 offset0:44 offset1:244
	ds_read2_b32 v[10:11], v15 offset0:104 offset1:254
	v_add_u32_e32 v21, 0xa00, v14
	ds_read2_b32 v[12:13], v21 offset0:10 offset1:160
	ds_read_b32 v22, v14 offset:5200
                                        ; implicit-def: $vgpr19
                                        ; implicit-def: $vgpr18
                                        ; implicit-def: $vgpr20
	s_and_saveexec_b64 s[2:3], vcc
	s_cbranch_execz .LBB0_19
; %bb.18:
	ds_read_b32 v16, v14 offset:1800
	ds_read_b32 v18, v14 offset:5800
	;; [unrolled: 1-line block ×3, first 2 shown]
	s_waitcnt lgkmcnt(2)
	v_lshrrev_b32_e32 v17, 16, v16
	s_waitcnt lgkmcnt(1)
	v_lshrrev_b32_e32 v19, 16, v18
	s_waitcnt lgkmcnt(0)
	v_alignbit_b32 v20, v8, v8, 16
.LBB0_19:
	s_or_b64 exec, exec, s[2:3]
	v_lshlrev_b32_e32 v8, 1, v0
	v_mov_b32_e32 v9, 0
	v_lshl_add_u64 v[24:25], v[8:9], 2, s[4:5]
	v_add_u32_e32 v26, 0x12c, v8
	v_mov_b32_e32 v27, v9
	v_add_u32_e32 v8, 0x258, v8
	global_load_dwordx2 v[24:25], v[24:25], off offset:1980
	v_lshl_add_u64 v[26:27], v[26:27], 2, s[4:5]
	global_load_dwordx2 v[26:27], v[26:27], off offset:1980
	v_lshl_add_u64 v[28:29], v[8:9], 2, s[4:5]
	global_load_dwordx2 v[28:29], v[28:29], off offset:1980
	s_waitcnt lgkmcnt(2)
	v_lshrrev_b32_e32 v35, 16, v10
	v_lshrrev_b32_e32 v36, 16, v5
	s_waitcnt lgkmcnt(0)
	v_lshrrev_b32_e32 v31, 16, v22
	v_lshrrev_b32_e32 v32, 16, v13
	;; [unrolled: 1-line block ×7, first 2 shown]
	s_mov_b32 s6, 0xbaee
	s_movk_i32 s7, 0x3aee
	s_barrier
	s_waitcnt vmcnt(2)
	v_mul_f16_sdwa v37, v24, v36 dst_sel:DWORD dst_unused:UNUSED_PAD src0_sel:WORD_1 src1_sel:DWORD
	v_mul_f16_sdwa v38, v24, v5 dst_sel:DWORD dst_unused:UNUSED_PAD src0_sel:WORD_1 src1_sel:DWORD
	;; [unrolled: 1-line block ×4, first 2 shown]
	v_fma_f16 v5, v24, v5, v37
	v_fma_f16 v24, v24, v36, -v38
	v_fma_f16 v10, v25, v10, v39
	v_fma_f16 v25, v25, v35, -v40
	s_waitcnt vmcnt(1)
	v_mul_f16_sdwa v35, v26, v34 dst_sel:DWORD dst_unused:UNUSED_PAD src0_sel:WORD_1 src1_sel:DWORD
	v_mul_f16_sdwa v36, v26, v12 dst_sel:DWORD dst_unused:UNUSED_PAD src0_sel:WORD_1 src1_sel:DWORD
	;; [unrolled: 1-line block ×4, first 2 shown]
	s_waitcnt vmcnt(0)
	v_mul_f16_sdwa v39, v28, v32 dst_sel:DWORD dst_unused:UNUSED_PAD src0_sel:WORD_1 src1_sel:DWORD
	v_mul_f16_sdwa v40, v28, v13 dst_sel:DWORD dst_unused:UNUSED_PAD src0_sel:WORD_1 src1_sel:DWORD
	;; [unrolled: 1-line block ×4, first 2 shown]
	v_fma_f16 v12, v26, v12, v35
	v_fma_f16 v26, v26, v34, -v36
	v_fma_f16 v11, v27, v11, v37
	v_fma_f16 v27, v27, v33, -v38
	;; [unrolled: 2-line block ×4, first 2 shown]
	v_add_f16_e32 v31, v6, v5
	v_add_f16_e32 v32, v5, v10
	;; [unrolled: 1-line block ×3, first 2 shown]
	v_sub_f16_e32 v33, v24, v25
	v_add_f16_e32 v24, v24, v25
	v_sub_f16_e32 v5, v5, v10
	v_add_f16_e32 v10, v31, v10
	v_fma_f16 v6, v32, -0.5, v6
	v_add_f16_e32 v25, v34, v25
	v_add_f16_e32 v31, v12, v11
	v_sub_f16_e32 v32, v26, v27
	v_add_f16_e32 v34, v23, v26
	v_add_f16_e32 v26, v26, v27
	v_fma_f16 v8, v24, -0.5, v8
	v_add_f16_e32 v24, v7, v12
	v_sub_f16_e32 v12, v12, v11
	v_sub_f16_e32 v37, v28, v29
	v_add_f16_e32 v38, v30, v28
	v_add_f16_e32 v28, v28, v29
	v_fma_f16 v7, v31, -0.5, v7
	v_fma_f16 v23, v26, -0.5, v23
	v_add_f16_e32 v35, v4, v13
	v_add_f16_e32 v36, v13, v22
	v_fma_f16 v39, v33, s6, v6
	v_fma_f16 v6, v33, s7, v6
	;; [unrolled: 1-line block ×4, first 2 shown]
	v_add_f16_e32 v8, v24, v11
	v_add_f16_e32 v11, v34, v27
	v_fma_f16 v26, v28, -0.5, v30
	v_fma_f16 v27, v32, s6, v7
	v_fma_f16 v7, v32, s7, v7
	;; [unrolled: 1-line block ×4, first 2 shown]
	v_sub_f16_e32 v13, v13, v22
	v_add_f16_e32 v22, v35, v22
	v_fma_f16 v4, v36, -0.5, v4
	v_add_f16_e32 v24, v38, v29
	v_pack_b32_f16 v5, v6, v5
	v_pack_b32_f16 v7, v7, v12
	v_fma_f16 v23, v37, s6, v4
	v_fma_f16 v29, v13, s7, v26
	v_pack_b32_f16 v10, v10, v25
	v_pack_b32_f16 v25, v39, v33
	;; [unrolled: 1-line block ×3, first 2 shown]
	ds_write2_b32 v15, v5, v7 offset0:104 offset1:254
	v_pack_b32_f16 v5, v22, v24
	v_fma_f16 v4, v37, s7, v4
	v_fma_f16 v13, v13, s6, v26
	ds_write2_b32 v14, v10, v6 offset1:150
	v_pack_b32_f16 v6, v27, v28
	ds_write2_b32 v1, v5, v25 offset0:44 offset1:244
	v_pack_b32_f16 v1, v23, v29
	ds_write2_b32 v21, v6, v1 offset0:10 offset1:160
	v_pack_b32_f16 v1, v4, v13
	ds_write_b32 v14, v1 offset:5200
	s_and_saveexec_b64 s[2:3], vcc
	s_cbranch_execz .LBB0_21
; %bb.20:
	v_not_b32_e32 v1, 49
	v_mov_b32_e32 v4, 0x1c2
	v_cndmask_b32_e32 v1, v1, v4, vcc
	v_add_lshl_u32 v8, v0, v1, 1
	v_lshl_add_u64 v[4:5], v[8:9], 2, s[4:5]
	global_load_dwordx2 v[4:5], v[4:5], off offset:1980
	v_lshrrev_b32_e32 v1, 16, v20
	s_waitcnt vmcnt(0)
	v_mul_f16_sdwa v6, v1, v4 dst_sel:DWORD dst_unused:UNUSED_PAD src0_sel:DWORD src1_sel:WORD_1
	v_mul_f16_sdwa v7, v18, v5 dst_sel:DWORD dst_unused:UNUSED_PAD src0_sel:DWORD src1_sel:WORD_1
	;; [unrolled: 1-line block ×4, first 2 shown]
	v_fma_f16 v6, v20, v4, -v6
	v_fma_f16 v7, v19, v5, -v7
	v_fma_f16 v1, v1, v4, v8
	v_fma_f16 v4, v18, v5, v9
	v_add_f16_e32 v5, v6, v7
	v_sub_f16_e32 v8, v1, v4
	v_add_f16_e32 v9, v17, v6
	v_add_f16_e32 v10, v1, v4
	;; [unrolled: 1-line block ×3, first 2 shown]
	v_sub_f16_e32 v6, v6, v7
	v_fma_f16 v5, v5, -0.5, v17
	v_add_f16_e32 v7, v9, v7
	v_fma_f16 v9, v10, -0.5, v16
	v_add_f16_e32 v1, v1, v4
	v_fma_f16 v4, v8, s6, v5
	v_fma_f16 v5, v8, s7, v5
	;; [unrolled: 1-line block ×4, first 2 shown]
	v_pack_b32_f16 v1, v1, v7
	ds_write_b32 v14, v1 offset:1800
	v_pack_b32_f16 v1, v6, v5
	v_pack_b32_f16 v4, v8, v4
	ds_write_b32 v14, v1 offset:3800
	ds_write_b32 v14, v4 offset:5800
.LBB0_21:
	s_or_b64 exec, exec, s[2:3]
	s_waitcnt lgkmcnt(0)
	s_barrier
	s_and_saveexec_b64 s[2:3], s[0:1]
	s_cbranch_execz .LBB0_23
; %bb.22:
	v_lshl_add_u32 v10, v0, 2, 0
	ds_read2_b32 v[4:5], v10 offset1:150
	v_mov_b32_e32 v1, 0
	v_lshl_add_u64 v[8:9], v[0:1], 2, v[2:3]
	v_add_u32_e32 v6, 0x96, v0
	v_mov_b32_e32 v7, v1
	s_waitcnt lgkmcnt(0)
	global_store_dword v[8:9], v4, off
	v_add_u32_e32 v4, 0x400, v10
	ds_read2_b32 v[8:9], v4 offset0:44 offset1:194
	v_lshl_add_u64 v[6:7], v[6:7], 2, v[2:3]
	global_store_dword v[6:7], v5, off
	v_add_u32_e32 v4, 0x12c, v0
	v_mov_b32_e32 v5, v1
	v_add_u32_e32 v6, 0x800, v10
	v_lshl_add_u64 v[4:5], v[4:5], 2, v[2:3]
	ds_read2_b32 v[6:7], v6 offset0:88 offset1:238
	s_waitcnt lgkmcnt(1)
	global_store_dword v[4:5], v8, off
	v_add_u32_e32 v4, 0x1c2, v0
	v_mov_b32_e32 v5, v1
	v_lshl_add_u64 v[4:5], v[4:5], 2, v[2:3]
	global_store_dword v[4:5], v9, off
	v_add_u32_e32 v4, 0x258, v0
	v_mov_b32_e32 v5, v1
	v_lshl_add_u64 v[4:5], v[4:5], 2, v[2:3]
	s_waitcnt lgkmcnt(0)
	global_store_dword v[4:5], v6, off
	v_add_u32_e32 v6, 0xe00, v10
	ds_read2_b32 v[8:9], v6 offset0:4 offset1:154
	v_add_u32_e32 v4, 0x2ee, v0
	v_mov_b32_e32 v5, v1
	v_lshl_add_u64 v[4:5], v[4:5], 2, v[2:3]
	global_store_dword v[4:5], v7, off
	v_add_u32_e32 v4, 0x384, v0
	v_mov_b32_e32 v5, v1
	v_add_u32_e32 v6, 0x1200, v10
	v_lshl_add_u64 v[4:5], v[4:5], 2, v[2:3]
	ds_read2_b32 v[6:7], v6 offset0:48 offset1:198
	s_waitcnt lgkmcnt(1)
	global_store_dword v[4:5], v8, off
	v_add_u32_e32 v4, 0x41a, v0
	v_mov_b32_e32 v5, v1
	v_lshl_add_u64 v[4:5], v[4:5], 2, v[2:3]
	global_store_dword v[4:5], v9, off
	v_add_u32_e32 v4, 0x4b0, v0
	v_mov_b32_e32 v5, v1
	v_add_u32_e32 v0, 0x546, v0
	v_lshl_add_u64 v[4:5], v[4:5], 2, v[2:3]
	v_lshl_add_u64 v[0:1], v[0:1], 2, v[2:3]
	s_waitcnt lgkmcnt(0)
	global_store_dword v[4:5], v6, off
	global_store_dword v[0:1], v7, off
.LBB0_23:
	s_endpgm
	.section	.rodata,"a",@progbits
	.p2align	6, 0x0
	.amdhsa_kernel fft_rtc_back_len1500_factors_5_10_10_3_wgs_150_tpt_150_halfLds_half_ip_CI_unitstride_sbrr_C2R_dirReg
		.amdhsa_group_segment_fixed_size 0
		.amdhsa_private_segment_fixed_size 0
		.amdhsa_kernarg_size 88
		.amdhsa_user_sgpr_count 2
		.amdhsa_user_sgpr_dispatch_ptr 0
		.amdhsa_user_sgpr_queue_ptr 0
		.amdhsa_user_sgpr_kernarg_segment_ptr 1
		.amdhsa_user_sgpr_dispatch_id 0
		.amdhsa_user_sgpr_kernarg_preload_length 0
		.amdhsa_user_sgpr_kernarg_preload_offset 0
		.amdhsa_user_sgpr_private_segment_size 0
		.amdhsa_uses_dynamic_stack 0
		.amdhsa_enable_private_segment 0
		.amdhsa_system_sgpr_workgroup_id_x 1
		.amdhsa_system_sgpr_workgroup_id_y 0
		.amdhsa_system_sgpr_workgroup_id_z 0
		.amdhsa_system_sgpr_workgroup_info 0
		.amdhsa_system_vgpr_workitem_id 0
		.amdhsa_next_free_vgpr 43
		.amdhsa_next_free_sgpr 22
		.amdhsa_accum_offset 44
		.amdhsa_reserve_vcc 1
		.amdhsa_float_round_mode_32 0
		.amdhsa_float_round_mode_16_64 0
		.amdhsa_float_denorm_mode_32 3
		.amdhsa_float_denorm_mode_16_64 3
		.amdhsa_dx10_clamp 1
		.amdhsa_ieee_mode 1
		.amdhsa_fp16_overflow 0
		.amdhsa_tg_split 0
		.amdhsa_exception_fp_ieee_invalid_op 0
		.amdhsa_exception_fp_denorm_src 0
		.amdhsa_exception_fp_ieee_div_zero 0
		.amdhsa_exception_fp_ieee_overflow 0
		.amdhsa_exception_fp_ieee_underflow 0
		.amdhsa_exception_fp_ieee_inexact 0
		.amdhsa_exception_int_div_zero 0
	.end_amdhsa_kernel
	.text
.Lfunc_end0:
	.size	fft_rtc_back_len1500_factors_5_10_10_3_wgs_150_tpt_150_halfLds_half_ip_CI_unitstride_sbrr_C2R_dirReg, .Lfunc_end0-fft_rtc_back_len1500_factors_5_10_10_3_wgs_150_tpt_150_halfLds_half_ip_CI_unitstride_sbrr_C2R_dirReg
                                        ; -- End function
	.section	.AMDGPU.csdata,"",@progbits
; Kernel info:
; codeLenInByte = 7716
; NumSgprs: 28
; NumVgprs: 43
; NumAgprs: 0
; TotalNumVgprs: 43
; ScratchSize: 0
; MemoryBound: 0
; FloatMode: 240
; IeeeMode: 1
; LDSByteSize: 0 bytes/workgroup (compile time only)
; SGPRBlocks: 3
; VGPRBlocks: 5
; NumSGPRsForWavesPerEU: 28
; NumVGPRsForWavesPerEU: 43
; AccumOffset: 44
; Occupancy: 8
; WaveLimiterHint : 1
; COMPUTE_PGM_RSRC2:SCRATCH_EN: 0
; COMPUTE_PGM_RSRC2:USER_SGPR: 2
; COMPUTE_PGM_RSRC2:TRAP_HANDLER: 0
; COMPUTE_PGM_RSRC2:TGID_X_EN: 1
; COMPUTE_PGM_RSRC2:TGID_Y_EN: 0
; COMPUTE_PGM_RSRC2:TGID_Z_EN: 0
; COMPUTE_PGM_RSRC2:TIDIG_COMP_CNT: 0
; COMPUTE_PGM_RSRC3_GFX90A:ACCUM_OFFSET: 10
; COMPUTE_PGM_RSRC3_GFX90A:TG_SPLIT: 0
	.text
	.p2alignl 6, 3212836864
	.fill 256, 4, 3212836864
	.type	__hip_cuid_1059639415f48c48,@object ; @__hip_cuid_1059639415f48c48
	.section	.bss,"aw",@nobits
	.globl	__hip_cuid_1059639415f48c48
__hip_cuid_1059639415f48c48:
	.byte	0                               ; 0x0
	.size	__hip_cuid_1059639415f48c48, 1

	.ident	"AMD clang version 19.0.0git (https://github.com/RadeonOpenCompute/llvm-project roc-6.4.0 25133 c7fe45cf4b819c5991fe208aaa96edf142730f1d)"
	.section	".note.GNU-stack","",@progbits
	.addrsig
	.addrsig_sym __hip_cuid_1059639415f48c48
	.amdgpu_metadata
---
amdhsa.kernels:
  - .agpr_count:     0
    .args:
      - .actual_access:  read_only
        .address_space:  global
        .offset:         0
        .size:           8
        .value_kind:     global_buffer
      - .offset:         8
        .size:           8
        .value_kind:     by_value
      - .actual_access:  read_only
        .address_space:  global
        .offset:         16
        .size:           8
        .value_kind:     global_buffer
      - .actual_access:  read_only
        .address_space:  global
        .offset:         24
        .size:           8
        .value_kind:     global_buffer
      - .offset:         32
        .size:           8
        .value_kind:     by_value
      - .actual_access:  read_only
        .address_space:  global
        .offset:         40
        .size:           8
        .value_kind:     global_buffer
      - .actual_access:  read_only
        .address_space:  global
        .offset:         48
        .size:           8
        .value_kind:     global_buffer
      - .offset:         56
        .size:           4
        .value_kind:     by_value
      - .actual_access:  read_only
        .address_space:  global
        .offset:         64
        .size:           8
        .value_kind:     global_buffer
      - .actual_access:  read_only
        .address_space:  global
        .offset:         72
        .size:           8
        .value_kind:     global_buffer
      - .address_space:  global
        .offset:         80
        .size:           8
        .value_kind:     global_buffer
    .group_segment_fixed_size: 0
    .kernarg_segment_align: 8
    .kernarg_segment_size: 88
    .language:       OpenCL C
    .language_version:
      - 2
      - 0
    .max_flat_workgroup_size: 150
    .name:           fft_rtc_back_len1500_factors_5_10_10_3_wgs_150_tpt_150_halfLds_half_ip_CI_unitstride_sbrr_C2R_dirReg
    .private_segment_fixed_size: 0
    .sgpr_count:     28
    .sgpr_spill_count: 0
    .symbol:         fft_rtc_back_len1500_factors_5_10_10_3_wgs_150_tpt_150_halfLds_half_ip_CI_unitstride_sbrr_C2R_dirReg.kd
    .uniform_work_group_size: 1
    .uses_dynamic_stack: false
    .vgpr_count:     43
    .vgpr_spill_count: 0
    .wavefront_size: 64
amdhsa.target:   amdgcn-amd-amdhsa--gfx950
amdhsa.version:
  - 1
  - 2
...

	.end_amdgpu_metadata
